;; amdgpu-corpus repo=ROCm/rocFFT kind=compiled arch=gfx1201 opt=O3
	.text
	.amdgcn_target "amdgcn-amd-amdhsa--gfx1201"
	.amdhsa_code_object_version 6
	.protected	fft_rtc_fwd_len84_factors_7_2_6_wgs_336_tpt_14_half_ip_CI_sbcc_dirReg ; -- Begin function fft_rtc_fwd_len84_factors_7_2_6_wgs_336_tpt_14_half_ip_CI_sbcc_dirReg
	.globl	fft_rtc_fwd_len84_factors_7_2_6_wgs_336_tpt_14_half_ip_CI_sbcc_dirReg
	.p2align	8
	.type	fft_rtc_fwd_len84_factors_7_2_6_wgs_336_tpt_14_half_ip_CI_sbcc_dirReg,@function
fft_rtc_fwd_len84_factors_7_2_6_wgs_336_tpt_14_half_ip_CI_sbcc_dirReg: ; @fft_rtc_fwd_len84_factors_7_2_6_wgs_336_tpt_14_half_ip_CI_sbcc_dirReg
; %bb.0:
	s_load_b128 s[8:11], s[0:1], 0x18
	s_mov_b32 s17, 0
	s_mov_b32 s2, 0xaaaa0000
	;; [unrolled: 1-line block ×4, first 2 shown]
	s_mov_b64 s[24:25], 0
	s_add_nc_u64 s[4:5], s[16:17], s[2:3]
	s_movk_i32 s2, 0xffe8
	s_mov_b32 s3, -1
	s_add_co_i32 s5, s5, 0xaaaaa80
	s_delay_alu instid0(SALU_CYCLE_1) | instskip(NEXT) | instid1(SALU_CYCLE_1)
	s_mul_u64 s[6:7], s[4:5], s[2:3]
	s_mul_hi_u32 s13, s4, s7
	s_mul_i32 s12, s4, s7
	s_mul_hi_u32 s16, s4, s6
	s_mul_i32 s15, s5, s6
	s_add_nc_u64 s[12:13], s[16:17], s[12:13]
	s_mul_hi_u32 s14, s5, s6
	s_mul_hi_u32 s18, s5, s7
	s_wait_kmcnt 0x0
	s_load_b64 s[2:3], s[8:9], 0x8
	s_mul_i32 s6, s5, s7
	s_add_co_u32 s7, s12, s15
	s_add_co_ci_u32 s16, s13, s14
	s_add_co_ci_u32 s7, s18, 0
	s_delay_alu instid0(SALU_CYCLE_1) | instskip(NEXT) | instid1(SALU_CYCLE_1)
	s_add_nc_u64 s[6:7], s[16:17], s[6:7]
	v_add_co_u32 v1, s4, s4, s6
	s_delay_alu instid0(VALU_DEP_1) | instskip(SKIP_1) | instid1(VALU_DEP_1)
	s_cmp_lg_u32 s4, 0
	s_add_co_ci_u32 s12, s5, s7
	v_readfirstlane_b32 s13, v1
	s_wait_kmcnt 0x0
	s_add_nc_u64 s[4:5], s[2:3], -1
	s_wait_alu 0xfffe
	s_mul_hi_u32 s7, s4, s12
	s_mul_i32 s6, s4, s12
	s_mul_hi_u32 s16, s4, s13
	s_mul_hi_u32 s15, s5, s13
	s_mul_i32 s13, s5, s13
	s_wait_alu 0xfffe
	s_add_nc_u64 s[6:7], s[16:17], s[6:7]
	s_mul_hi_u32 s14, s5, s12
	s_wait_alu 0xfffe
	s_add_co_u32 s6, s6, s13
	s_add_co_ci_u32 s16, s7, s15
	s_mul_i32 s12, s5, s12
	s_add_co_ci_u32 s13, s14, 0
	s_delay_alu instid0(SALU_CYCLE_1) | instskip(SKIP_2) | instid1(SALU_CYCLE_1)
	s_add_nc_u64 s[6:7], s[16:17], s[12:13]
	s_wait_alu 0xfffe
	s_mul_u64 s[12:13], s[6:7], 24
	v_sub_co_u32 v1, s4, s4, s12
	s_delay_alu instid0(VALU_DEP_1) | instskip(SKIP_1) | instid1(VALU_DEP_1)
	s_cmp_lg_u32 s4, 0
	s_sub_co_ci_u32 s14, s5, s13
	v_sub_co_u32 v2, s12, v1, 24
	s_delay_alu instid0(VALU_DEP_1) | instskip(SKIP_2) | instid1(VALU_DEP_2)
	s_cmp_lg_u32 s12, 0
	v_readfirstlane_b32 s16, v1
	s_sub_co_ci_u32 s12, s14, 0
	v_readfirstlane_b32 s4, v2
	s_delay_alu instid0(VALU_DEP_1)
	s_cmp_gt_u32 s4, 23
	s_add_nc_u64 s[4:5], s[6:7], 1
	s_cselect_b32 s15, -1, 0
	s_wait_alu 0xfffe
	s_cmp_eq_u32 s12, 0
	s_add_nc_u64 s[12:13], s[6:7], 2
	s_cselect_b32 s15, s15, -1
	s_delay_alu instid0(SALU_CYCLE_1)
	s_cmp_lg_u32 s15, 0
	s_wait_alu 0xfffe
	s_cselect_b32 s4, s12, s4
	s_cselect_b32 s5, s13, s5
	s_cmp_gt_u32 s16, 23
	s_mov_b32 s16, ttmp9
	s_cselect_b32 s12, -1, 0
	s_cmp_eq_u32 s14, 0
	s_wait_alu 0xfffe
	s_cselect_b32 s12, s12, -1
	s_wait_alu 0xfffe
	s_cmp_lg_u32 s12, 0
	s_cselect_b32 s5, s5, s7
	s_cselect_b32 s4, s4, s6
	s_wait_alu 0xfffe
	s_add_nc_u64 s[18:19], s[4:5], 1
	s_delay_alu instid0(SALU_CYCLE_1) | instskip(NEXT) | instid1(VALU_DEP_1)
	v_cmp_lt_u64_e64 s4, s[16:17], s[18:19]
	s_and_b32 vcc_lo, exec_lo, s4
	s_cbranch_vccnz .LBB0_2
; %bb.1:
	v_cvt_f32_u32_e32 v1, s18
	s_sub_co_i32 s5, 0, s18
	s_mov_b32 s25, s17
	s_delay_alu instid0(VALU_DEP_1) | instskip(NEXT) | instid1(TRANS32_DEP_1)
	v_rcp_iflag_f32_e32 v1, v1
	v_mul_f32_e32 v1, 0x4f7ffffe, v1
	s_delay_alu instid0(VALU_DEP_1) | instskip(NEXT) | instid1(VALU_DEP_1)
	v_cvt_u32_f32_e32 v1, v1
	v_readfirstlane_b32 s4, v1
	s_wait_alu 0xfffe
	s_delay_alu instid0(VALU_DEP_1)
	s_mul_i32 s5, s5, s4
	s_wait_alu 0xfffe
	s_mul_hi_u32 s5, s4, s5
	s_wait_alu 0xfffe
	s_add_co_i32 s4, s4, s5
	s_wait_alu 0xfffe
	s_mul_hi_u32 s4, s16, s4
	s_wait_alu 0xfffe
	s_mul_i32 s5, s4, s18
	s_add_co_i32 s6, s4, 1
	s_wait_alu 0xfffe
	s_sub_co_i32 s5, s16, s5
	s_wait_alu 0xfffe
	s_sub_co_i32 s7, s5, s18
	s_cmp_ge_u32 s5, s18
	s_cselect_b32 s4, s6, s4
	s_wait_alu 0xfffe
	s_cselect_b32 s5, s7, s5
	s_add_co_i32 s6, s4, 1
	s_wait_alu 0xfffe
	s_cmp_ge_u32 s5, s18
	s_cselect_b32 s24, s6, s4
.LBB0_2:
	s_load_b64 s[22:23], s[0:1], 0x10
	s_load_b128 s[4:7], s[10:11], 0x0
	s_load_b64 s[12:13], s[0:1], 0x0
	s_mul_u64 s[14:15], s[24:25], s[18:19]
	s_delay_alu instid0(SALU_CYCLE_1) | instskip(NEXT) | instid1(SALU_CYCLE_1)
	s_sub_nc_u64 s[14:15], s[16:17], s[14:15]
	s_mul_u64 s[14:15], s[14:15], 24
	s_wait_kmcnt 0x0
	v_cmp_lt_u64_e64 s20, s[22:23], 3
	s_delay_alu instid0(VALU_DEP_1)
	s_and_b32 vcc_lo, exec_lo, s20
	s_mul_u64 s[20:21], s[6:7], s[14:15]
	s_cbranch_vccnz .LBB0_12
; %bb.3:
	s_add_nc_u64 s[26:27], s[10:11], 16
	s_add_nc_u64 s[8:9], s[8:9], 16
	s_mov_b64 s[28:29], 2
	s_mov_b32 s30, 0
.LBB0_4:                                ; =>This Inner Loop Header: Depth=1
	s_load_b64 s[34:35], s[8:9], 0x0
                                        ; implicit-def: $sgpr38_sgpr39
	s_wait_kmcnt 0x0
	s_or_b64 s[36:37], s[24:25], s[34:35]
	s_delay_alu instid0(SALU_CYCLE_1)
	s_mov_b32 s31, s37
	s_mov_b32 s37, -1
	s_wait_alu 0xfffe
	s_cmp_lg_u64 s[30:31], 0
	s_cbranch_scc0 .LBB0_6
; %bb.5:                                ;   in Loop: Header=BB0_4 Depth=1
	s_cvt_f32_u32 s31, s34
	s_cvt_f32_u32 s33, s35
	s_sub_nc_u64 s[40:41], 0, s[34:35]
	s_mov_b32 s37, 0
	s_mov_b32 s45, s30
	s_wait_alu 0xfffe
	s_fmamk_f32 s31, s33, 0x4f800000, s31
	s_wait_alu 0xfffe
	s_delay_alu instid0(SALU_CYCLE_2) | instskip(NEXT) | instid1(TRANS32_DEP_1)
	v_s_rcp_f32 s31, s31
	s_mul_f32 s31, s31, 0x5f7ffffc
	s_wait_alu 0xfffe
	s_delay_alu instid0(SALU_CYCLE_2) | instskip(NEXT) | instid1(SALU_CYCLE_3)
	s_mul_f32 s33, s31, 0x2f800000
	s_trunc_f32 s33, s33
	s_delay_alu instid0(SALU_CYCLE_3) | instskip(SKIP_2) | instid1(SALU_CYCLE_1)
	s_fmamk_f32 s31, s33, 0xcf800000, s31
	s_cvt_u32_f32 s39, s33
	s_wait_alu 0xfffe
	s_cvt_u32_f32 s38, s31
	s_wait_alu 0xfffe
	s_delay_alu instid0(SALU_CYCLE_2)
	s_mul_u64 s[42:43], s[40:41], s[38:39]
	s_wait_alu 0xfffe
	s_mul_hi_u32 s47, s38, s43
	s_mul_i32 s46, s38, s43
	s_mul_hi_u32 s36, s38, s42
	s_mul_i32 s33, s39, s42
	s_add_nc_u64 s[46:47], s[36:37], s[46:47]
	s_mul_hi_u32 s31, s39, s42
	s_mul_hi_u32 s48, s39, s43
	s_add_co_u32 s33, s46, s33
	s_wait_alu 0xfffe
	s_add_co_ci_u32 s44, s47, s31
	s_mul_i32 s42, s39, s43
	s_add_co_ci_u32 s43, s48, 0
	s_wait_alu 0xfffe
	s_add_nc_u64 s[42:43], s[44:45], s[42:43]
	s_wait_alu 0xfffe
	v_add_co_u32 v1, s31, s38, s42
	s_delay_alu instid0(VALU_DEP_1) | instskip(SKIP_1) | instid1(VALU_DEP_1)
	s_cmp_lg_u32 s31, 0
	s_add_co_ci_u32 s39, s39, s43
	v_readfirstlane_b32 s38, v1
	s_mov_b32 s43, s30
	s_wait_alu 0xfffe
	s_delay_alu instid0(VALU_DEP_1)
	s_mul_u64 s[40:41], s[40:41], s[38:39]
	s_wait_alu 0xfffe
	s_mul_hi_u32 s45, s38, s41
	s_mul_i32 s44, s38, s41
	s_mul_hi_u32 s36, s38, s40
	s_mul_i32 s33, s39, s40
	s_add_nc_u64 s[44:45], s[36:37], s[44:45]
	s_mul_hi_u32 s31, s39, s40
	s_mul_hi_u32 s38, s39, s41
	s_add_co_u32 s33, s44, s33
	s_wait_alu 0xfffe
	s_add_co_ci_u32 s42, s45, s31
	s_mul_i32 s40, s39, s41
	s_add_co_ci_u32 s41, s38, 0
	s_wait_alu 0xfffe
	s_add_nc_u64 s[40:41], s[42:43], s[40:41]
	s_wait_alu 0xfffe
	v_add_co_u32 v1, s31, v1, s40
	s_delay_alu instid0(VALU_DEP_1) | instskip(SKIP_1) | instid1(VALU_DEP_1)
	s_cmp_lg_u32 s31, 0
	s_add_co_ci_u32 s31, s39, s41
	v_readfirstlane_b32 s33, v1
	s_wait_alu 0xfffe
	s_mul_hi_u32 s39, s24, s31
	s_mul_i32 s38, s24, s31
	s_mul_hi_u32 s41, s25, s31
	s_mul_i32 s40, s25, s31
	s_mul_hi_u32 s36, s24, s33
	s_mul_i32 s31, s25, s33
	s_wait_alu 0xfffe
	s_add_nc_u64 s[38:39], s[36:37], s[38:39]
	s_mul_hi_u32 s33, s25, s33
	s_wait_alu 0xfffe
	s_add_co_u32 s31, s38, s31
	s_add_co_ci_u32 s42, s39, s33
	s_add_co_ci_u32 s41, s41, 0
	s_wait_alu 0xfffe
	s_add_nc_u64 s[38:39], s[42:43], s[40:41]
	s_wait_alu 0xfffe
	s_mul_u64 s[40:41], s[34:35], s[38:39]
	s_add_nc_u64 s[42:43], s[38:39], 1
	s_wait_alu 0xfffe
	v_sub_co_u32 v1, s31, s24, s40
	s_sub_co_i32 s33, s25, s41
	s_cmp_lg_u32 s31, 0
	s_add_nc_u64 s[44:45], s[38:39], 2
	s_delay_alu instid0(VALU_DEP_1) | instskip(SKIP_2) | instid1(VALU_DEP_1)
	v_sub_co_u32 v2, s36, v1, s34
	s_sub_co_ci_u32 s33, s33, s35
	s_cmp_lg_u32 s36, 0
	v_readfirstlane_b32 s36, v2
	s_sub_co_ci_u32 s33, s33, 0
	s_delay_alu instid0(SALU_CYCLE_1) | instskip(SKIP_1) | instid1(VALU_DEP_1)
	s_cmp_ge_u32 s33, s35
	s_cselect_b32 s40, -1, 0
	s_cmp_ge_u32 s36, s34
	s_cselect_b32 s36, -1, 0
	s_cmp_eq_u32 s33, s35
	s_wait_alu 0xfffe
	s_cselect_b32 s33, s36, s40
	s_delay_alu instid0(SALU_CYCLE_1)
	s_cmp_lg_u32 s33, 0
	s_cselect_b32 s33, s44, s42
	s_cselect_b32 s36, s45, s43
	s_cmp_lg_u32 s31, 0
	v_readfirstlane_b32 s31, v1
	s_sub_co_ci_u32 s40, s25, s41
	s_wait_alu 0xfffe
	s_cmp_ge_u32 s40, s35
	s_cselect_b32 s41, -1, 0
	s_cmp_ge_u32 s31, s34
	s_cselect_b32 s31, -1, 0
	s_cmp_eq_u32 s40, s35
	s_wait_alu 0xfffe
	s_cselect_b32 s31, s31, s41
	s_wait_alu 0xfffe
	s_cmp_lg_u32 s31, 0
	s_cselect_b32 s39, s36, s39
	s_cselect_b32 s38, s33, s38
.LBB0_6:                                ;   in Loop: Header=BB0_4 Depth=1
	s_and_not1_b32 vcc_lo, exec_lo, s37
	s_cbranch_vccnz .LBB0_8
; %bb.7:                                ;   in Loop: Header=BB0_4 Depth=1
	v_cvt_f32_u32_e32 v1, s34
	s_sub_co_i32 s33, 0, s34
	s_mov_b32 s39, s30
	s_delay_alu instid0(VALU_DEP_1) | instskip(NEXT) | instid1(TRANS32_DEP_1)
	v_rcp_iflag_f32_e32 v1, v1
	v_mul_f32_e32 v1, 0x4f7ffffe, v1
	s_delay_alu instid0(VALU_DEP_1) | instskip(NEXT) | instid1(VALU_DEP_1)
	v_cvt_u32_f32_e32 v1, v1
	v_readfirstlane_b32 s31, v1
	s_delay_alu instid0(VALU_DEP_1) | instskip(NEXT) | instid1(SALU_CYCLE_1)
	s_mul_i32 s33, s33, s31
	s_mul_hi_u32 s33, s31, s33
	s_delay_alu instid0(SALU_CYCLE_1)
	s_add_co_i32 s31, s31, s33
	s_wait_alu 0xfffe
	s_mul_hi_u32 s31, s24, s31
	s_wait_alu 0xfffe
	s_mul_i32 s33, s31, s34
	s_add_co_i32 s36, s31, 1
	s_sub_co_i32 s33, s24, s33
	s_delay_alu instid0(SALU_CYCLE_1)
	s_sub_co_i32 s37, s33, s34
	s_cmp_ge_u32 s33, s34
	s_cselect_b32 s31, s36, s31
	s_cselect_b32 s33, s37, s33
	s_wait_alu 0xfffe
	s_add_co_i32 s36, s31, 1
	s_cmp_ge_u32 s33, s34
	s_cselect_b32 s38, s36, s31
.LBB0_8:                                ;   in Loop: Header=BB0_4 Depth=1
	s_load_b64 s[36:37], s[26:27], 0x0
	s_add_nc_u64 s[28:29], s[28:29], 1
	s_mul_u64 s[18:19], s[34:35], s[18:19]
	s_wait_alu 0xfffe
	v_cmp_ge_u64_e64 s31, s[28:29], s[22:23]
	s_mul_u64 s[34:35], s[38:39], s[34:35]
	s_add_nc_u64 s[26:27], s[26:27], 8
	s_wait_alu 0xfffe
	s_sub_nc_u64 s[24:25], s[24:25], s[34:35]
	s_add_nc_u64 s[8:9], s[8:9], 8
	s_and_b32 vcc_lo, exec_lo, s31
	s_wait_kmcnt 0x0
	s_wait_alu 0xfffe
	s_mul_u64 s[24:25], s[36:37], s[24:25]
	s_wait_alu 0xfffe
	s_add_nc_u64 s[20:21], s[24:25], s[20:21]
	s_cbranch_vccnz .LBB0_10
; %bb.9:                                ;   in Loop: Header=BB0_4 Depth=1
	s_mov_b64 s[24:25], s[38:39]
	s_branch .LBB0_4
.LBB0_10:
	v_cmp_lt_u64_e64 s8, s[16:17], s[18:19]
	s_mov_b64 s[24:25], 0
	s_delay_alu instid0(VALU_DEP_1)
	s_and_b32 vcc_lo, exec_lo, s8
	s_cbranch_vccnz .LBB0_12
; %bb.11:
	v_cvt_f32_u32_e32 v1, s18
	s_sub_co_i32 s9, 0, s18
	s_mov_b32 s25, 0
	s_delay_alu instid0(VALU_DEP_1) | instskip(NEXT) | instid1(TRANS32_DEP_1)
	v_rcp_iflag_f32_e32 v1, v1
	v_mul_f32_e32 v1, 0x4f7ffffe, v1
	s_delay_alu instid0(VALU_DEP_1) | instskip(NEXT) | instid1(VALU_DEP_1)
	v_cvt_u32_f32_e32 v1, v1
	v_readfirstlane_b32 s8, v1
	s_delay_alu instid0(VALU_DEP_1) | instskip(NEXT) | instid1(SALU_CYCLE_1)
	s_mul_i32 s9, s9, s8
	s_mul_hi_u32 s9, s8, s9
	s_delay_alu instid0(SALU_CYCLE_1) | instskip(NEXT) | instid1(SALU_CYCLE_1)
	s_add_co_i32 s8, s8, s9
	s_mul_hi_u32 s8, s16, s8
	s_delay_alu instid0(SALU_CYCLE_1) | instskip(NEXT) | instid1(SALU_CYCLE_1)
	s_mul_i32 s9, s8, s18
	s_sub_co_i32 s9, s16, s9
	s_add_co_i32 s16, s8, 1
	s_sub_co_i32 s17, s9, s18
	s_cmp_ge_u32 s9, s18
	s_wait_alu 0xfffe
	s_cselect_b32 s8, s16, s8
	s_cselect_b32 s9, s17, s9
	s_add_co_i32 s16, s8, 1
	s_cmp_ge_u32 s9, s18
	s_wait_alu 0xfffe
	s_cselect_b32 s24, s16, s8
.LBB0_12:
	s_load_b64 s[8:9], s[0:1], 0x58
	s_lshl_b64 s[0:1], s[22:23], 3
	v_mul_u32_u24_e32 v1, 0xaab, v0
	s_add_nc_u64 s[0:1], s[10:11], s[0:1]
	s_add_nc_u64 s[16:17], s[14:15], 24
	s_load_b64 s[10:11], s[0:1], 0x0
	v_cmp_le_u64_e64 s1, s[16:17], s[2:3]
	v_lshrrev_b32_e32 v2, 16, v1
	v_cmp_gt_u32_e64 s0, 0x120, v0
	v_cmp_gt_u64_e64 s16, s[16:17], s[2:3]
                                        ; implicit-def: $vgpr6
                                        ; implicit-def: $vgpr10
                                        ; implicit-def: $vgpr8
                                        ; implicit-def: $vgpr9
                                        ; implicit-def: $vgpr5
                                        ; implicit-def: $vgpr7
                                        ; implicit-def: $vgpr4
	s_delay_alu instid0(VALU_DEP_3) | instskip(NEXT) | instid1(VALU_DEP_3)
	v_mul_lo_u16 v1, v2, 24
	s_and_b32 s18, s0, s1
	s_delay_alu instid0(VALU_DEP_1) | instskip(NEXT) | instid1(VALU_DEP_1)
	v_sub_nc_u16 v1, v0, v1
	v_and_b32_e32 v1, 0xffff, v1
	s_wait_kmcnt 0x0
	s_mul_u64 s[10:11], s[10:11], s[24:25]
	s_delay_alu instid0(SALU_CYCLE_1)
	s_add_nc_u64 s[10:11], s[10:11], s[20:21]
	s_wait_alu 0xfffe
	s_and_saveexec_b32 s17, s18
	s_cbranch_execnz .LBB0_19
; %bb.13:
	s_wait_alu 0xfffe
	s_or_b32 exec_lo, exec_lo, s17
	s_delay_alu instid0(SALU_CYCLE_1)
	s_and_not1_b32 vcc_lo, exec_lo, s16
	s_cbranch_vccz .LBB0_20
.LBB0_14:
	v_lshlrev_b32_e32 v3, 2, v1
	s_and_saveexec_b32 s16, s0
	s_cbranch_execz .LBB0_16
.LBB0_15:
	s_wait_loadcnt 0x0
	v_pk_add_f16 v11, v6, v10
	v_pk_add_f16 v12, v5, v7
	v_pk_add_f16 v6, v6, v10 neg_lo:[0,1] neg_hi:[0,1]
	v_pk_add_f16 v10, v9, v8 neg_lo:[0,1] neg_hi:[0,1]
	v_pk_add_f16 v8, v8, v9
	v_pk_add_f16 v5, v5, v7 neg_lo:[0,1] neg_hi:[0,1]
	v_pk_add_f16 v9, v11, v12
	v_mul_u32_u24_e32 v7, 0x2a0, v2
	v_pk_add_f16 v13, v6, v10 op_sel:[1,1] op_sel_hi:[0,0] neg_lo:[0,1] neg_hi:[0,1]
	v_pk_add_f16 v14, v11, v8 neg_lo:[0,1] neg_hi:[0,1]
	v_pk_add_f16 v16, v5, v6 op_sel:[1,1] op_sel_hi:[0,0] neg_lo:[0,1] neg_hi:[0,1]
	v_pk_add_f16 v9, v8, v9
	v_pk_add_f16 v11, v12, v11 neg_lo:[0,1] neg_hi:[0,1]
	v_pk_add_f16 v15, v10, v5 op_sel:[1,1] op_sel_hi:[0,0]
	v_pk_mul_f16 v14, 0x3a52, v14 op_sel_hi:[0,1]
	v_pk_add_f16 v5, v10, v5 op_sel:[1,1] op_sel_hi:[0,0] neg_lo:[0,1] neg_hi:[0,1]
	v_pk_mul_f16 v10, 0x3b00, v16 op_sel_hi:[0,1]
	v_pk_add_f16 v4, v4, v9
	v_pk_add_f16 v8, v8, v12 neg_lo:[0,1] neg_hi:[0,1]
	v_pk_fma_f16 v12, 0x39e0, v11, v14 op_sel_hi:[0,1,1] neg_lo:[0,1,1] neg_hi:[0,1,1]
	v_pk_mul_f16 v11, 0x39e0, v11 op_sel_hi:[0,1]
	v_pk_add_f16 v6, v15, v6 op_sel:[0,1] op_sel_hi:[1,0]
	v_pk_fma_f16 v15, 0x3574, v13, v10 op_sel_hi:[0,1,1] neg_lo:[0,1,1] neg_hi:[0,1,1]
	v_pk_mul_f16 v13, 0x3574, v13 op_sel_hi:[0,1]
	v_pk_fma_f16 v9, 0xbcab, v9, v4 op_sel_hi:[0,1,1]
	v_pk_fma_f16 v10, 0xb846, v5, v10 op_sel_hi:[0,1,1] neg_lo:[0,1,0] neg_hi:[0,1,0]
	v_pk_fma_f16 v11, 0x2b26, v8, v11 op_sel_hi:[0,1,1] neg_lo:[0,1,0] neg_hi:[0,1,0]
	v_pk_fma_f16 v8, 0x2b26, v8, v14 op_sel_hi:[0,1,1]
	v_pk_fma_f16 v5, 0xb846, v5, v13 op_sel_hi:[0,1,1]
	v_pk_add_f16 v12, v12, v9
	v_pk_fma_f16 v15, 0x370e, v6, v15 op_sel_hi:[0,1,1]
	v_pk_fma_f16 v10, 0x370e, v6, v10 op_sel_hi:[0,1,1]
	v_pk_add_f16 v11, v11, v9
	v_pk_add_f16 v8, v8, v9
	v_pk_fma_f16 v5, 0x370e, v6, v5 op_sel_hi:[0,1,1]
	v_pk_add_f16 v13, v12, v15
	v_pk_add_f16 v6, v12, v15 neg_lo:[0,1] neg_hi:[0,1]
	v_pk_add_f16 v9, v11, v10 neg_lo:[0,1] neg_hi:[0,1]
	v_pk_add_f16 v10, v11, v10
	v_pk_add_f16 v11, v8, v5 neg_lo:[0,1] neg_hi:[0,1]
	v_pk_add_f16 v5, v8, v5
	v_add3_u32 v7, 0, v7, v3
	v_bfi_b32 v8, 0xffff, v13, v6
	v_bfi_b32 v12, 0xffff, v9, v10
	;; [unrolled: 1-line block ×6, first 2 shown]
	ds_store_2addr_b32 v7, v8, v12 offset0:48 offset1:72
	ds_store_2addr_b32 v7, v9, v6 offset0:96 offset1:120
	ds_store_2addr_b32 v7, v4, v10 offset1:24
	ds_store_b32 v7, v5 offset:576
.LBB0_16:
	s_wait_alu 0xfffe
	s_or_b32 exec_lo, exec_lo, s16
	s_wait_loadcnt 0x6
	v_mad_u16 v4, v2, 37, 0x40c
	s_wait_loadcnt 0x4
	v_mad_u16 v5, v2, 37, 0x206
	global_wb scope:SCOPE_SE
	s_wait_loadcnt_dscnt 0x0
	s_barrier_signal -1
	s_barrier_wait -1
	v_lshrrev_b16 v8, 8, v4
	v_lshrrev_b16 v9, 8, v5
	v_mul_lo_u16 v5, v2, 37
	global_inv scope:SCOPE_SE
	v_mul_lo_u16 v4, v8, 7
	v_mul_lo_u16 v6, v9, 7
	v_lshrrev_b16 v10, 8, v5
	v_and_b32_e32 v9, 0xffff, v9
	v_and_b32_e32 v8, 0xffff, v8
	v_sub_nc_u16 v4, v2, v4
	v_sub_nc_u16 v6, v2, v6
	v_mul_lo_u16 v7, v10, 7
	s_delay_alu instid0(VALU_DEP_3) | instskip(NEXT) | instid1(VALU_DEP_3)
	v_add_nc_u16 v4, v4, 28
	v_add_nc_u16 v6, v6, 14
	s_delay_alu instid0(VALU_DEP_3) | instskip(NEXT) | instid1(VALU_DEP_3)
	v_sub_nc_u16 v11, v2, v7
	v_and_b32_e32 v12, 0xff, v4
	s_delay_alu instid0(VALU_DEP_3) | instskip(NEXT) | instid1(VALU_DEP_3)
	v_and_b32_e32 v13, 0xff, v6
	v_and_b32_e32 v4, 0xff, v11
	v_mad_u16 v10, v10, 14, v11
	s_delay_alu instid0(VALU_DEP_4) | instskip(NEXT) | instid1(VALU_DEP_4)
	v_lshlrev_b32_e32 v6, 2, v12
	v_lshlrev_b32_e32 v7, 2, v13
	s_delay_alu instid0(VALU_DEP_4)
	v_lshlrev_b32_e32 v4, 2, v4
	v_mad_u32_u24 v9, v9, 14, v13
	v_mad_u32_u24 v8, v8, 14, v12
	s_clause 0x2
	global_load_b32 v14, v6, s[12:13]
	global_load_b32 v15, v7, s[12:13]
	;; [unrolled: 1-line block ×3, first 2 shown]
	v_mul_u32_u24_e32 v4, 0x60, v2
	v_add_co_u32 v6, s0, s14, v1
	s_delay_alu instid0(VALU_DEP_1) | instskip(NEXT) | instid1(VALU_DEP_3)
	v_add_co_ci_u32_e64 v7, null, s15, 0, s0
	v_add3_u32 v4, 0, v4, v3
	v_and_b32_e32 v10, 0xff, v10
	v_mul_u32_u24_e32 v9, 0x60, v9
	s_delay_alu instid0(VALU_DEP_4)
	v_cmp_gt_u64_e32 vcc_lo, s[2:3], v[6:7]
	ds_load_b32 v17, v4 offset:6720
	ds_load_b32 v18, v4 offset:4032
	;; [unrolled: 1-line block ×3, first 2 shown]
	ds_load_b32 v6, v4
	ds_load_b32 v7, v4 offset:1344
	ds_load_b32 v11, v4 offset:2688
	v_mul_u32_u24_e32 v10, 0x60, v10
	v_mul_u32_u24_e32 v8, 0x60, v8
	v_add3_u32 v9, 0, v9, v3
	s_or_b32 s0, s1, vcc_lo
	global_wb scope:SCOPE_SE
	s_wait_loadcnt_dscnt 0x0
	v_add3_u32 v10, 0, v10, v3
	v_add3_u32 v3, 0, v8, v3
	s_barrier_signal -1
	s_barrier_wait -1
	global_inv scope:SCOPE_SE
	v_pk_mul_f16 v13, v14, v17 op_sel:[0,1]
	v_pk_mul_f16 v20, v15, v19 op_sel:[0,1]
	;; [unrolled: 1-line block ×3, first 2 shown]
	s_delay_alu instid0(VALU_DEP_3) | instskip(NEXT) | instid1(VALU_DEP_3)
	v_pk_fma_f16 v12, v14, v17, v13 op_sel:[0,0,1] op_sel_hi:[1,1,0] neg_lo:[0,0,1] neg_hi:[0,0,1]
	v_pk_fma_f16 v22, v15, v19, v20 op_sel:[0,0,1] op_sel_hi:[1,1,0] neg_lo:[0,0,1] neg_hi:[0,0,1]
	s_delay_alu instid0(VALU_DEP_3) | instskip(SKIP_3) | instid1(VALU_DEP_3)
	v_pk_fma_f16 v23, v16, v18, v21 op_sel:[0,0,1] op_sel_hi:[1,1,0] neg_lo:[0,0,1] neg_hi:[0,0,1]
	v_pk_fma_f16 v16, v16, v18, v21 op_sel:[0,0,1] op_sel_hi:[1,0,0]
	v_pk_fma_f16 v15, v15, v19, v20 op_sel:[0,0,1] op_sel_hi:[1,0,0]
	;; [unrolled: 1-line block ×3, first 2 shown]
	v_bfi_b32 v14, 0xffff, v23, v16
	s_delay_alu instid0(VALU_DEP_3) | instskip(NEXT) | instid1(VALU_DEP_3)
	v_bfi_b32 v15, 0xffff, v22, v15
	v_bfi_b32 v12, 0xffff, v12, v13
	s_delay_alu instid0(VALU_DEP_3) | instskip(NEXT) | instid1(VALU_DEP_3)
	v_pk_add_f16 v13, v6, v14 neg_lo:[0,1] neg_hi:[0,1]
	v_pk_add_f16 v14, v7, v15 neg_lo:[0,1] neg_hi:[0,1]
	s_delay_alu instid0(VALU_DEP_3) | instskip(NEXT) | instid1(VALU_DEP_3)
	v_pk_add_f16 v12, v11, v12 neg_lo:[0,1] neg_hi:[0,1]
	v_pk_fma_f16 v6, v6, 2.0, v13 op_sel_hi:[1,0,1] neg_lo:[0,0,1] neg_hi:[0,0,1]
	s_delay_alu instid0(VALU_DEP_3) | instskip(NEXT) | instid1(VALU_DEP_3)
	v_pk_fma_f16 v7, v7, 2.0, v14 op_sel_hi:[1,0,1] neg_lo:[0,0,1] neg_hi:[0,0,1]
	v_pk_fma_f16 v8, v11, 2.0, v12 op_sel_hi:[1,0,1] neg_lo:[0,0,1] neg_hi:[0,0,1]
	ds_store_2addr_b32 v10, v6, v13 offset1:168
	ds_store_2addr_b32 v9, v7, v14 offset1:168
	;; [unrolled: 1-line block ×3, first 2 shown]
	global_wb scope:SCOPE_SE
	s_wait_dscnt 0x0
	s_barrier_signal -1
	s_barrier_wait -1
	global_inv scope:SCOPE_SE
	s_wait_alu 0xfffe
	s_and_saveexec_b32 s1, s0
	s_cbranch_execz .LBB0_18
; %bb.17:
	v_lshrrev_b16 v3, 9, v5
	v_and_b32_e32 v0, 0xffff, v0
	v_add_nc_u32_e32 v11, 0xa80, v4
	v_add_nc_u32_e32 v10, 0x540, v4
	s_lshl_b64 s[0:1], s[10:11], 2
	v_mul_lo_u16 v3, v3, 14
	v_mul_u32_u24_e32 v12, 0x187, v0
	s_wait_alu 0xfffe
	s_add_nc_u64 s[0:1], s[8:9], s[0:1]
	s_delay_alu instid0(VALU_DEP_2) | instskip(NEXT) | instid1(VALU_DEP_1)
	v_sub_nc_u16 v2, v2, v3
	v_and_b32_e32 v9, 0xff, v2
	s_delay_alu instid0(VALU_DEP_1) | instskip(NEXT) | instid1(VALU_DEP_1)
	v_mul_u32_u24_e32 v2, 5, v9
	v_lshlrev_b32_e32 v2, 2, v2
	s_clause 0x1
	global_load_b128 v[5:8], v2, s[12:13] offset:28
	global_load_b32 v26, v2, s[12:13] offset:44
	v_mad_co_u64_u32 v[2:3], null, s6, v1, 0
	ds_load_b32 v27, v4 offset:5376
	ds_load_b32 v28, v4
	ds_load_b32 v29, v11
	;; [unrolled: 1-line block ×3, first 2 shown]
	ds_load_b32 v31, v4 offset:6720
	ds_load_b32 v32, v4 offset:4032
	v_mov_b32_e32 v0, v3
	v_lshrrev_b32_e32 v3, 17, v12
	s_delay_alu instid0(VALU_DEP_2) | instskip(NEXT) | instid1(VALU_DEP_2)
	v_mad_co_u64_u32 v[0:1], null, s7, v1, v[0:1]
	v_mul_lo_u16 v1, 0x54, v3
	s_wait_dscnt 0x3
	v_lshrrev_b32_e32 v35, 16, v29
	s_delay_alu instid0(VALU_DEP_3) | instskip(NEXT) | instid1(VALU_DEP_3)
	v_mov_b32_e32 v3, v0
	v_and_b32_e32 v1, 0xffff, v1
	v_lshrrev_b32_e32 v33, 16, v27
	s_wait_dscnt 0x2
	v_lshrrev_b32_e32 v36, 16, v30
	s_wait_dscnt 0x0
	v_lshrrev_b32_e32 v37, 16, v32
	v_lshlrev_b64_e32 v[2:3], 2, v[2:3]
	v_add_nc_u32_e32 v4, v9, v1
	v_lshrrev_b32_e32 v38, 16, v31
	v_lshrrev_b32_e32 v34, 16, v28
	s_delay_alu instid0(VALU_DEP_3) | instskip(SKIP_3) | instid1(VALU_DEP_4)
	v_add_nc_u32_e32 v22, 28, v4
	v_add_nc_u32_e32 v24, 56, v4
	v_mad_co_u64_u32 v[0:1], null, s4, v4, 0
	v_add_nc_u32_e32 v25, 0x46, v4
	v_mad_co_u64_u32 v[11:12], null, s4, v22, 0
	s_delay_alu instid0(VALU_DEP_4) | instskip(SKIP_1) | instid1(VALU_DEP_4)
	v_mad_co_u64_u32 v[15:16], null, s4, v24, 0
	v_add_nc_u32_e32 v21, 14, v4
	v_mad_co_u64_u32 v[17:18], null, s4, v25, 0
	v_add_nc_u32_e32 v23, 42, v4
	v_mad_co_u64_u32 v[19:20], null, s5, v4, v[1:2]
	v_mov_b32_e32 v4, v12
	v_mov_b32_e32 v12, v16
	v_mad_co_u64_u32 v[9:10], null, s4, v21, 0
	v_mad_co_u64_u32 v[13:14], null, s4, v23, 0
	s_delay_alu instid0(VALU_DEP_1) | instskip(SKIP_1) | instid1(VALU_DEP_2)
	v_dual_mov_b32 v1, v10 :: v_dual_mov_b32 v10, v14
	v_mov_b32_e32 v14, v18
	v_mad_co_u64_u32 v[20:21], null, s5, v21, v[1:2]
	v_mov_b32_e32 v1, v19
	s_delay_alu instid0(VALU_DEP_1)
	v_lshlrev_b64_e32 v[0:1], 2, v[0:1]
	s_wait_loadcnt 0x1
	v_mad_co_u64_u32 v[21:22], null, s5, v22, v[4:5]
	v_mad_co_u64_u32 v[22:23], null, s5, v23, v[10:11]
	v_mov_b32_e32 v10, v20
	v_mad_co_u64_u32 v[23:24], null, s5, v24, v[12:13]
	s_wait_alu 0xfffe
	v_add_co_u32 v4, vcc_lo, s0, v2
	v_mov_b32_e32 v12, v21
	v_mad_co_u64_u32 v[24:25], null, s5, v25, v[14:15]
	s_wait_alu 0xfffd
	v_add_co_ci_u32_e32 v19, vcc_lo, s1, v3, vcc_lo
	v_lshlrev_b64_e32 v[2:3], 2, v[9:10]
	v_mov_b32_e32 v14, v22
	v_lshlrev_b64_e32 v[9:10], 2, v[11:12]
	v_add_co_u32 v0, vcc_lo, v4, v0
	v_mov_b32_e32 v16, v23
	s_wait_alu 0xfffd
	v_add_co_ci_u32_e32 v1, vcc_lo, v19, v1, vcc_lo
	v_lshlrev_b64_e32 v[11:12], 2, v[13:14]
	v_add_co_u32 v2, vcc_lo, v4, v2
	v_mov_b32_e32 v18, v24
	s_wait_alu 0xfffd
	v_add_co_ci_u32_e32 v3, vcc_lo, v19, v3, vcc_lo
	v_lshlrev_b64_e32 v[13:14], 2, v[15:16]
	v_add_co_u32 v9, vcc_lo, v4, v9
	s_wait_alu 0xfffd
	v_add_co_ci_u32_e32 v10, vcc_lo, v19, v10, vcc_lo
	v_lshlrev_b64_e32 v[15:16], 2, v[17:18]
	v_add_co_u32 v11, vcc_lo, v4, v11
	s_wait_alu 0xfffd
	v_add_co_ci_u32_e32 v12, vcc_lo, v19, v12, vcc_lo
	v_add_co_u32 v13, vcc_lo, v4, v13
	s_wait_alu 0xfffd
	v_add_co_ci_u32_e32 v14, vcc_lo, v19, v14, vcc_lo
	;; [unrolled: 3-line block ×3, first 2 shown]
	v_lshrrev_b32_e32 v4, 16, v6
	v_lshrrev_b32_e32 v17, 16, v8
	;; [unrolled: 1-line block ×4, first 2 shown]
	s_wait_loadcnt 0x0
	v_lshrrev_b32_e32 v20, 16, v26
	v_mul_f16_e32 v21, v4, v35
	v_mul_f16_e32 v22, v17, v33
	;; [unrolled: 1-line block ×10, first 2 shown]
	v_fma_f16 v21, v6, v29, -v21
	v_fma_f16 v22, v8, v27, -v22
	v_fmac_f16_e32 v4, v6, v35
	v_fmac_f16_e32 v17, v8, v33
	v_fma_f16 v6, v5, v30, -v23
	v_fma_f16 v8, v7, v32, -v24
	;; [unrolled: 1-line block ×3, first 2 shown]
	v_fmac_f16_e32 v19, v7, v37
	v_fmac_f16_e32 v20, v26, v38
	;; [unrolled: 1-line block ×3, first 2 shown]
	v_sub_f16_e32 v5, v21, v22
	v_add_f16_e32 v24, v8, v23
	v_sub_f16_e32 v26, v8, v23
	v_add_f16_e32 v27, v19, v20
	;; [unrolled: 2-line block ×3, first 2 shown]
	v_add_f16_e32 v30, v21, v22
	v_add_f16_e32 v21, v28, v21
	;; [unrolled: 1-line block ×3, first 2 shown]
	v_fma_f16 v6, -0.5, v24, v6
	v_fma_f16 v18, -0.5, v27, v18
	v_add_f16_e32 v7, v4, v17
	v_add_f16_e32 v29, v34, v4
	v_sub_f16_e32 v4, v4, v17
	v_add_f16_e32 v19, v19, v20
	v_fma_f16 v20, -0.5, v30, v28
	v_add_f16_e32 v21, v21, v22
	v_add_f16_e32 v8, v8, v23
	v_fmamk_f16 v23, v25, 0xbaee, v6
	v_fmamk_f16 v24, v26, 0x3aee, v18
	v_fmac_f16_e32 v18, 0xbaee, v26
	v_fmac_f16_e32 v6, 0x3aee, v25
	v_fma_f16 v7, -0.5, v7, v34
	v_add_f16_e32 v17, v29, v17
	v_fmamk_f16 v25, v4, 0xbaee, v20
	v_fmac_f16_e32 v20, 0x3aee, v4
	v_sub_f16_e32 v4, v21, v8
	v_add_f16_e32 v8, v21, v8
	v_mul_f16_e32 v21, 0xbaee, v6
	v_mul_f16_e32 v27, 0x3aee, v18
	v_fmamk_f16 v22, v5, 0x3aee, v7
	v_fmac_f16_e32 v7, 0xbaee, v5
	v_sub_f16_e32 v5, v17, v19
	v_add_f16_e32 v17, v17, v19
	v_mul_f16_e32 v19, -0.5, v24
	v_mul_f16_e32 v26, -0.5, v23
	v_fmac_f16_e32 v21, 0.5, v18
	v_fmac_f16_e32 v27, 0.5, v6
	v_pack_b32_f16 v8, v8, v17
	v_fmac_f16_e32 v19, 0xbaee, v23
	v_fmac_f16_e32 v26, 0x3aee, v24
	v_add_f16_e32 v17, v7, v21
	v_add_f16_e32 v18, v20, v27
	v_pack_b32_f16 v4, v4, v5
	v_sub_f16_e32 v5, v22, v19
	v_add_f16_e32 v6, v22, v19
	v_add_f16_e32 v19, v25, v26
	v_sub_f16_e32 v7, v7, v21
	v_sub_f16_e32 v20, v20, v27
	;; [unrolled: 1-line block ×3, first 2 shown]
	v_pack_b32_f16 v17, v18, v17
	v_pack_b32_f16 v6, v19, v6
	global_store_b32 v[0:1], v8, off
	v_pack_b32_f16 v0, v20, v7
	v_pack_b32_f16 v1, v21, v5
	s_clause 0x4
	global_store_b32 v[2:3], v17, off
	global_store_b32 v[9:10], v6, off
	;; [unrolled: 1-line block ×5, first 2 shown]
.LBB0_18:
	s_nop 0
	s_sendmsg sendmsg(MSG_DEALLOC_VGPRS)
	s_endpgm
.LBB0_19:
	v_mad_co_u64_u32 v[3:4], null, s6, v1, 0
	v_mad_co_u64_u32 v[5:6], null, s4, v2, 0
	v_add_nc_u32_e32 v13, 12, v2
	v_add_nc_u32_e32 v14, 24, v2
	s_lshl_b64 s[18:19], s[10:11], 2
	v_add_nc_u32_e32 v20, 60, v2
	s_wait_alu 0xfffe
	s_add_nc_u64 s[18:19], s[8:9], s[18:19]
	v_mad_co_u64_u32 v[7:8], null, s4, v13, 0
	v_mad_co_u64_u32 v[9:10], null, s7, v1, v[4:5]
	v_add_nc_u32_e32 v15, 36, v2
	v_add_nc_u32_e32 v17, 48, v2
	;; [unrolled: 1-line block ×3, first 2 shown]
	v_mad_co_u64_u32 v[10:11], null, s5, v2, v[6:7]
	v_mov_b32_e32 v6, v8
	v_mad_co_u64_u32 v[11:12], null, s4, v14, 0
	v_mov_b32_e32 v4, v9
	s_delay_alu instid0(VALU_DEP_3) | instskip(SKIP_1) | instid1(VALU_DEP_3)
	v_mad_co_u64_u32 v[8:9], null, s5, v13, v[6:7]
	v_mov_b32_e32 v6, v10
	v_lshlrev_b64_e32 v[3:4], 2, v[3:4]
	v_mov_b32_e32 v9, v12
	s_delay_alu instid0(VALU_DEP_3) | instskip(SKIP_2) | instid1(VALU_DEP_4)
	v_lshlrev_b64_e32 v[5:6], 2, v[5:6]
	v_lshlrev_b64_e32 v[7:8], 2, v[7:8]
	s_wait_alu 0xfffe
	v_add_co_u32 v21, vcc_lo, s18, v3
	v_add_co_ci_u32_e32 v22, vcc_lo, s19, v4, vcc_lo
	v_mad_co_u64_u32 v[3:4], null, s4, v15, 0
	v_mad_co_u64_u32 v[9:10], null, s5, v14, v[9:10]
	;; [unrolled: 1-line block ×3, first 2 shown]
	v_add_co_u32 v5, vcc_lo, v21, v5
	s_wait_alu 0xfffd
	v_add_co_ci_u32_e32 v6, vcc_lo, v22, v6, vcc_lo
	s_delay_alu instid0(VALU_DEP_4) | instskip(NEXT) | instid1(VALU_DEP_3)
	v_mov_b32_e32 v12, v9
	v_mad_co_u64_u32 v[9:10], null, s5, v15, v[4:5]
	v_mad_co_u64_u32 v[15:16], null, s4, v20, 0
	v_mov_b32_e32 v4, v14
	s_delay_alu instid0(VALU_DEP_4)
	v_lshlrev_b64_e32 v[11:12], 2, v[11:12]
	v_add_co_u32 v7, vcc_lo, v21, v7
	s_wait_alu 0xfffd
	v_add_co_ci_u32_e32 v8, vcc_lo, v22, v8, vcc_lo
	v_mad_co_u64_u32 v[17:18], null, s5, v17, v[4:5]
	v_mad_co_u64_u32 v[18:19], null, s4, v23, 0
	v_mov_b32_e32 v10, v16
	v_mov_b32_e32 v4, v9
	s_delay_alu instid0(VALU_DEP_4) | instskip(NEXT) | instid1(VALU_DEP_3)
	v_mov_b32_e32 v14, v17
	v_mad_co_u64_u32 v[9:10], null, s5, v20, v[10:11]
	v_mov_b32_e32 v10, v19
	v_add_co_u32 v11, vcc_lo, v21, v11
	v_lshlrev_b64_e32 v[3:4], 2, v[3:4]
	s_wait_alu 0xfffd
	v_add_co_ci_u32_e32 v12, vcc_lo, v22, v12, vcc_lo
	s_delay_alu instid0(VALU_DEP_3)
	v_mad_co_u64_u32 v[19:20], null, s5, v23, v[10:11]
	v_mov_b32_e32 v16, v9
	v_lshlrev_b64_e32 v[13:14], 2, v[13:14]
	v_add_co_u32 v9, vcc_lo, v21, v3
	s_wait_alu 0xfffd
	v_add_co_ci_u32_e32 v10, vcc_lo, v22, v4, vcc_lo
	v_lshlrev_b64_e32 v[3:4], 2, v[15:16]
	s_delay_alu instid0(VALU_DEP_4) | instskip(SKIP_3) | instid1(VALU_DEP_4)
	v_add_co_u32 v13, vcc_lo, v21, v13
	v_lshlrev_b64_e32 v[15:16], 2, v[18:19]
	s_wait_alu 0xfffd
	v_add_co_ci_u32_e32 v14, vcc_lo, v22, v14, vcc_lo
	v_add_co_u32 v17, vcc_lo, v21, v3
	s_wait_alu 0xfffd
	v_add_co_ci_u32_e32 v18, vcc_lo, v22, v4, vcc_lo
	v_add_co_u32 v15, vcc_lo, v21, v15
	s_wait_alu 0xfffd
	v_add_co_ci_u32_e32 v16, vcc_lo, v22, v16, vcc_lo
	s_clause 0x6
	global_load_b32 v4, v[5:6], off
	global_load_b32 v6, v[7:8], off
	;; [unrolled: 1-line block ×7, first 2 shown]
	s_or_b32 exec_lo, exec_lo, s17
	s_delay_alu instid0(SALU_CYCLE_1)
	s_and_not1_b32 vcc_lo, exec_lo, s16
	s_wait_alu 0xfffe
	s_cbranch_vccnz .LBB0_14
.LBB0_20:
	v_add_co_u32 v11, s16, s14, v1
	s_wait_alu 0xf1ff
	v_add_co_ci_u32_e64 v12, null, s15, 0, s16
	s_delay_alu instid0(VALU_DEP_1)
	v_cmp_gt_u64_e32 vcc_lo, s[2:3], v[11:12]
	s_and_b32 s17, s0, vcc_lo
	s_wait_alu 0xfffe
	s_and_saveexec_b32 s16, s17
	s_cbranch_execz .LBB0_22
; %bb.21:
	s_wait_loadcnt 0x6
	v_mad_co_u64_u32 v[3:4], null, s6, v1, 0
	s_wait_loadcnt 0x4
	v_mad_co_u64_u32 v[5:6], null, s4, v2, 0
	v_add_nc_u32_e32 v13, 12, v2
	v_add_nc_u32_e32 v14, 24, v2
	s_lshl_b64 s[18:19], s[10:11], 2
	v_add_nc_u32_e32 v20, 60, v2
	s_wait_alu 0xfffe
	s_add_nc_u64 s[18:19], s[8:9], s[18:19]
	s_wait_loadcnt 0x1
	v_mad_co_u64_u32 v[7:8], null, s4, v13, 0
	s_wait_loadcnt 0x0
	v_mad_co_u64_u32 v[9:10], null, s7, v1, v[4:5]
	v_add_nc_u32_e32 v15, 36, v2
	v_add_nc_u32_e32 v17, 48, v2
	;; [unrolled: 1-line block ×3, first 2 shown]
	v_mad_co_u64_u32 v[10:11], null, s5, v2, v[6:7]
	v_mov_b32_e32 v6, v8
	v_mad_co_u64_u32 v[11:12], null, s4, v14, 0
	v_mov_b32_e32 v4, v9
	s_delay_alu instid0(VALU_DEP_3) | instskip(SKIP_1) | instid1(VALU_DEP_3)
	v_mad_co_u64_u32 v[8:9], null, s5, v13, v[6:7]
	v_mov_b32_e32 v6, v10
	v_lshlrev_b64_e32 v[3:4], 2, v[3:4]
	v_mov_b32_e32 v9, v12
	s_delay_alu instid0(VALU_DEP_3) | instskip(SKIP_2) | instid1(VALU_DEP_4)
	v_lshlrev_b64_e32 v[5:6], 2, v[5:6]
	v_lshlrev_b64_e32 v[7:8], 2, v[7:8]
	s_wait_alu 0xfffe
	v_add_co_u32 v21, vcc_lo, s18, v3
	s_wait_alu 0xfffd
	v_add_co_ci_u32_e32 v22, vcc_lo, s19, v4, vcc_lo
	v_mad_co_u64_u32 v[3:4], null, s4, v15, 0
	v_mad_co_u64_u32 v[9:10], null, s5, v14, v[9:10]
	;; [unrolled: 1-line block ×3, first 2 shown]
	v_add_co_u32 v5, vcc_lo, v21, v5
	s_wait_alu 0xfffd
	v_add_co_ci_u32_e32 v6, vcc_lo, v22, v6, vcc_lo
	s_delay_alu instid0(VALU_DEP_4) | instskip(NEXT) | instid1(VALU_DEP_3)
	v_mov_b32_e32 v12, v9
	v_mad_co_u64_u32 v[9:10], null, s5, v15, v[4:5]
	v_mad_co_u64_u32 v[15:16], null, s4, v20, 0
	v_mov_b32_e32 v4, v14
	s_delay_alu instid0(VALU_DEP_4)
	v_lshlrev_b64_e32 v[11:12], 2, v[11:12]
	v_add_co_u32 v7, vcc_lo, v21, v7
	s_wait_alu 0xfffd
	v_add_co_ci_u32_e32 v8, vcc_lo, v22, v8, vcc_lo
	v_mad_co_u64_u32 v[17:18], null, s5, v17, v[4:5]
	v_mad_co_u64_u32 v[18:19], null, s4, v23, 0
	v_mov_b32_e32 v10, v16
	v_mov_b32_e32 v4, v9
	s_delay_alu instid0(VALU_DEP_4) | instskip(NEXT) | instid1(VALU_DEP_3)
	v_mov_b32_e32 v14, v17
	v_mad_co_u64_u32 v[9:10], null, s5, v20, v[10:11]
	v_mov_b32_e32 v10, v19
	v_add_co_u32 v11, vcc_lo, v21, v11
	v_lshlrev_b64_e32 v[3:4], 2, v[3:4]
	s_wait_alu 0xfffd
	v_add_co_ci_u32_e32 v12, vcc_lo, v22, v12, vcc_lo
	s_delay_alu instid0(VALU_DEP_3)
	v_mad_co_u64_u32 v[19:20], null, s5, v23, v[10:11]
	v_mov_b32_e32 v16, v9
	v_lshlrev_b64_e32 v[13:14], 2, v[13:14]
	v_add_co_u32 v9, vcc_lo, v21, v3
	s_wait_alu 0xfffd
	v_add_co_ci_u32_e32 v10, vcc_lo, v22, v4, vcc_lo
	v_lshlrev_b64_e32 v[3:4], 2, v[15:16]
	s_delay_alu instid0(VALU_DEP_4) | instskip(SKIP_3) | instid1(VALU_DEP_4)
	v_add_co_u32 v13, vcc_lo, v21, v13
	v_lshlrev_b64_e32 v[15:16], 2, v[18:19]
	s_wait_alu 0xfffd
	v_add_co_ci_u32_e32 v14, vcc_lo, v22, v14, vcc_lo
	v_add_co_u32 v17, vcc_lo, v21, v3
	s_wait_alu 0xfffd
	v_add_co_ci_u32_e32 v18, vcc_lo, v22, v4, vcc_lo
	v_add_co_u32 v15, vcc_lo, v21, v15
	s_wait_alu 0xfffd
	v_add_co_ci_u32_e32 v16, vcc_lo, v22, v16, vcc_lo
	s_clause 0x6
	global_load_b32 v4, v[5:6], off
	global_load_b32 v6, v[7:8], off
	;; [unrolled: 1-line block ×7, first 2 shown]
.LBB0_22:
	s_wait_alu 0xfffe
	s_or_b32 exec_lo, exec_lo, s16
	v_lshlrev_b32_e32 v3, 2, v1
	s_and_saveexec_b32 s16, s0
	s_cbranch_execnz .LBB0_15
	s_branch .LBB0_16
	.section	.rodata,"a",@progbits
	.p2align	6, 0x0
	.amdhsa_kernel fft_rtc_fwd_len84_factors_7_2_6_wgs_336_tpt_14_half_ip_CI_sbcc_dirReg
		.amdhsa_group_segment_fixed_size 0
		.amdhsa_private_segment_fixed_size 0
		.amdhsa_kernarg_size 96
		.amdhsa_user_sgpr_count 2
		.amdhsa_user_sgpr_dispatch_ptr 0
		.amdhsa_user_sgpr_queue_ptr 0
		.amdhsa_user_sgpr_kernarg_segment_ptr 1
		.amdhsa_user_sgpr_dispatch_id 0
		.amdhsa_user_sgpr_private_segment_size 0
		.amdhsa_wavefront_size32 1
		.amdhsa_uses_dynamic_stack 0
		.amdhsa_enable_private_segment 0
		.amdhsa_system_sgpr_workgroup_id_x 1
		.amdhsa_system_sgpr_workgroup_id_y 0
		.amdhsa_system_sgpr_workgroup_id_z 0
		.amdhsa_system_sgpr_workgroup_info 0
		.amdhsa_system_vgpr_workitem_id 0
		.amdhsa_next_free_vgpr 39
		.amdhsa_next_free_sgpr 49
		.amdhsa_reserve_vcc 1
		.amdhsa_float_round_mode_32 0
		.amdhsa_float_round_mode_16_64 0
		.amdhsa_float_denorm_mode_32 3
		.amdhsa_float_denorm_mode_16_64 3
		.amdhsa_fp16_overflow 0
		.amdhsa_workgroup_processor_mode 1
		.amdhsa_memory_ordered 1
		.amdhsa_forward_progress 0
		.amdhsa_round_robin_scheduling 0
		.amdhsa_exception_fp_ieee_invalid_op 0
		.amdhsa_exception_fp_denorm_src 0
		.amdhsa_exception_fp_ieee_div_zero 0
		.amdhsa_exception_fp_ieee_overflow 0
		.amdhsa_exception_fp_ieee_underflow 0
		.amdhsa_exception_fp_ieee_inexact 0
		.amdhsa_exception_int_div_zero 0
	.end_amdhsa_kernel
	.text
.Lfunc_end0:
	.size	fft_rtc_fwd_len84_factors_7_2_6_wgs_336_tpt_14_half_ip_CI_sbcc_dirReg, .Lfunc_end0-fft_rtc_fwd_len84_factors_7_2_6_wgs_336_tpt_14_half_ip_CI_sbcc_dirReg
                                        ; -- End function
	.section	.AMDGPU.csdata,"",@progbits
; Kernel info:
; codeLenInByte = 5152
; NumSgprs: 51
; NumVgprs: 39
; ScratchSize: 0
; MemoryBound: 0
; FloatMode: 240
; IeeeMode: 1
; LDSByteSize: 0 bytes/workgroup (compile time only)
; SGPRBlocks: 6
; VGPRBlocks: 4
; NumSGPRsForWavesPerEU: 51
; NumVGPRsForWavesPerEU: 39
; Occupancy: 14
; WaveLimiterHint : 1
; COMPUTE_PGM_RSRC2:SCRATCH_EN: 0
; COMPUTE_PGM_RSRC2:USER_SGPR: 2
; COMPUTE_PGM_RSRC2:TRAP_HANDLER: 0
; COMPUTE_PGM_RSRC2:TGID_X_EN: 1
; COMPUTE_PGM_RSRC2:TGID_Y_EN: 0
; COMPUTE_PGM_RSRC2:TGID_Z_EN: 0
; COMPUTE_PGM_RSRC2:TIDIG_COMP_CNT: 0
	.text
	.p2alignl 7, 3214868480
	.fill 96, 4, 3214868480
	.type	__hip_cuid_f62ec196c088a676,@object ; @__hip_cuid_f62ec196c088a676
	.section	.bss,"aw",@nobits
	.globl	__hip_cuid_f62ec196c088a676
__hip_cuid_f62ec196c088a676:
	.byte	0                               ; 0x0
	.size	__hip_cuid_f62ec196c088a676, 1

	.ident	"AMD clang version 19.0.0git (https://github.com/RadeonOpenCompute/llvm-project roc-6.4.0 25133 c7fe45cf4b819c5991fe208aaa96edf142730f1d)"
	.section	".note.GNU-stack","",@progbits
	.addrsig
	.addrsig_sym __hip_cuid_f62ec196c088a676
	.amdgpu_metadata
---
amdhsa.kernels:
  - .args:
      - .actual_access:  read_only
        .address_space:  global
        .offset:         0
        .size:           8
        .value_kind:     global_buffer
      - .address_space:  global
        .offset:         8
        .size:           8
        .value_kind:     global_buffer
      - .offset:         16
        .size:           8
        .value_kind:     by_value
      - .actual_access:  read_only
        .address_space:  global
        .offset:         24
        .size:           8
        .value_kind:     global_buffer
      - .actual_access:  read_only
        .address_space:  global
        .offset:         32
        .size:           8
        .value_kind:     global_buffer
      - .offset:         40
        .size:           8
        .value_kind:     by_value
      - .actual_access:  read_only
        .address_space:  global
        .offset:         48
        .size:           8
        .value_kind:     global_buffer
      - .actual_access:  read_only
        .address_space:  global
        .offset:         56
        .size:           8
        .value_kind:     global_buffer
      - .offset:         64
        .size:           4
        .value_kind:     by_value
      - .actual_access:  read_only
        .address_space:  global
        .offset:         72
        .size:           8
        .value_kind:     global_buffer
      - .actual_access:  read_only
        .address_space:  global
        .offset:         80
        .size:           8
        .value_kind:     global_buffer
      - .address_space:  global
        .offset:         88
        .size:           8
        .value_kind:     global_buffer
    .group_segment_fixed_size: 0
    .kernarg_segment_align: 8
    .kernarg_segment_size: 96
    .language:       OpenCL C
    .language_version:
      - 2
      - 0
    .max_flat_workgroup_size: 336
    .name:           fft_rtc_fwd_len84_factors_7_2_6_wgs_336_tpt_14_half_ip_CI_sbcc_dirReg
    .private_segment_fixed_size: 0
    .sgpr_count:     51
    .sgpr_spill_count: 0
    .symbol:         fft_rtc_fwd_len84_factors_7_2_6_wgs_336_tpt_14_half_ip_CI_sbcc_dirReg.kd
    .uniform_work_group_size: 1
    .uses_dynamic_stack: false
    .vgpr_count:     39
    .vgpr_spill_count: 0
    .wavefront_size: 32
    .workgroup_processor_mode: 1
amdhsa.target:   amdgcn-amd-amdhsa--gfx1201
amdhsa.version:
  - 1
  - 2
...

	.end_amdgpu_metadata
